;; amdgpu-corpus repo=ROCm/rocFFT kind=compiled arch=gfx1030 opt=O3
	.text
	.amdgcn_target "amdgcn-amd-amdhsa--gfx1030"
	.amdhsa_code_object_version 6
	.protected	fft_rtc_back_len50_factors_10_5_wgs_50_tpt_5_dp_op_CI_CI_sbrc_xy_z_unaligned ; -- Begin function fft_rtc_back_len50_factors_10_5_wgs_50_tpt_5_dp_op_CI_CI_sbrc_xy_z_unaligned
	.globl	fft_rtc_back_len50_factors_10_5_wgs_50_tpt_5_dp_op_CI_CI_sbrc_xy_z_unaligned
	.p2align	8
	.type	fft_rtc_back_len50_factors_10_5_wgs_50_tpt_5_dp_op_CI_CI_sbrc_xy_z_unaligned,@function
fft_rtc_back_len50_factors_10_5_wgs_50_tpt_5_dp_op_CI_CI_sbrc_xy_z_unaligned: ; @fft_rtc_back_len50_factors_10_5_wgs_50_tpt_5_dp_op_CI_CI_sbrc_xy_z_unaligned
; %bb.0:
	s_clause 0x1
	s_load_dwordx4 s[8:11], s[4:5], 0x10
	s_load_dwordx2 s[24:25], s[4:5], 0x20
	s_waitcnt lgkmcnt(0)
	s_load_dwordx4 s[0:3], s[8:9], 0x8
	s_clause 0x1
	s_load_dwordx4 s[16:19], s[10:11], 0x0
	s_load_dwordx2 s[20:21], s[10:11], 0x10
	s_waitcnt lgkmcnt(0)
	s_add_i32 s3, s2, -1
	s_mul_hi_u32 s3, s3, 0xcccccccd
	s_lshr_b32 s3, s3, 3
	s_add_i32 s3, s3, 1
	s_mul_i32 s8, s3, s0
	v_cvt_f32_u32_e32 v1, s8
	s_sub_i32 s7, 0, s8
	v_rcp_iflag_f32_e32 v1, v1
	v_mul_f32_e32 v1, 0x4f7ffffe, v1
	v_cvt_u32_f32_e32 v1, v1
	v_readfirstlane_b32 s3, v1
	v_cvt_f32_u32_e32 v1, s0
	s_mul_i32 s7, s7, s3
	s_mul_hi_u32 s7, s3, s7
	s_add_i32 s3, s3, s7
	s_mul_hi_u32 s3, s6, s3
	s_mul_i32 s7, s3, s8
	s_add_i32 s9, s3, 1
	s_sub_i32 s7, s6, s7
	s_sub_i32 s12, s7, s8
	s_cmp_ge_u32 s7, s8
	s_cselect_b32 s3, s9, s3
	s_cselect_b32 s7, s12, s7
	s_add_i32 s9, s3, 1
	s_cmp_ge_u32 s7, s8
	s_mov_b32 s7, 0
	s_cselect_b32 s3, s9, s3
	s_mov_b32 s13, s7
	s_mul_i32 s8, s3, s8
	s_sub_i32 s12, s6, s8
	v_cmp_lt_u64_e64 s8, s[12:13], s[0:1]
	s_and_b32 vcc_lo, exec_lo, s8
	s_mov_b64 s[8:9], 0
	s_cbranch_vccnz .LBB0_2
; %bb.1:
	v_rcp_iflag_f32_e32 v2, v1
	s_sub_i32 s9, 0, s0
	v_mul_f32_e32 v2, 0x4f7ffffe, v2
	v_cvt_u32_f32_e32 v2, v2
	v_readfirstlane_b32 s8, v2
	s_mul_i32 s9, s9, s8
	s_mul_hi_u32 s9, s8, s9
	s_add_i32 s8, s8, s9
	s_mul_hi_u32 s8, s12, s8
	s_mul_i32 s9, s8, s0
	s_sub_i32 s9, s12, s9
	s_add_i32 s12, s8, 1
	s_sub_i32 s13, s9, s0
	s_cmp_ge_u32 s9, s0
	s_cselect_b32 s8, s12, s8
	s_cselect_b32 s9, s13, s9
	s_add_i32 s12, s8, 1
	s_cmp_ge_u32 s9, s0
	s_cselect_b32 s8, s12, s8
.LBB0_2:
	s_load_dwordx2 s[22:23], s[4:5], 0x58
	v_cmp_lt_u64_e64 s1, s[6:7], s[0:1]
	s_and_b32 vcc_lo, exec_lo, s1
	s_cbranch_vccnz .LBB0_4
; %bb.3:
	v_rcp_iflag_f32_e32 v1, v1
	s_sub_i32 s7, 0, s0
	v_mul_f32_e32 v1, 0x4f7ffffe, v1
	v_cvt_u32_f32_e32 v1, v1
	v_readfirstlane_b32 s1, v1
	s_mul_i32 s7, s7, s1
	s_mul_hi_u32 s7, s1, s7
	s_add_i32 s1, s1, s7
	s_mul_hi_u32 s1, s6, s1
	s_mul_i32 s1, s1, s0
	s_sub_i32 s1, s6, s1
	s_sub_i32 s6, s1, s0
	s_cmp_ge_u32 s1, s0
	s_cselect_b32 s1, s6, s1
	s_sub_i32 s6, s1, s0
	s_cmp_ge_u32 s1, s0
	s_cselect_b32 s6, s6, s1
.LBB0_4:
	s_load_dwordx4 s[12:15], s[4:5], 0x0
	s_mul_i32 s7, s8, 10
	s_mul_i32 s0, s6, s18
	s_mul_i32 s1, s7, s20
	v_mul_u32_u24_e32 v1, 0x51f, v0
	s_add_i32 s21, s0, s1
	v_lshrrev_b32_e32 v3, 16, v1
	v_mul_lo_u16 v1, v3, 50
	v_sub_nc_u16 v1, v0, v1
	s_waitcnt lgkmcnt(0)
	s_lshl_b64 s[14:15], s[14:15], 3
	s_add_u32 s0, s10, s14
	s_addc_u32 s1, s11, s15
	v_and_b32_e32 v4, 0xffff, v1
	s_load_dwordx2 s[18:19], s[0:1], 0x0
	s_clause 0x1
	s_load_dwordx4 s[8:11], s[24:25], 0x0
	s_load_dwordx2 s[0:1], s[24:25], 0x10
	s_waitcnt lgkmcnt(0)
	s_mul_i32 s1, s19, s3
	s_mul_hi_u32 s11, s18, s3
	s_mul_i32 s18, s18, s3
	s_add_i32 s11, s11, s1
	s_add_u32 s18, s18, s21
	s_addc_u32 s19, s11, 0
	s_add_u32 s14, s24, s14
	s_addc_u32 s15, s25, s15
	s_add_i32 s1, s7, 10
	s_load_dwordx2 s[14:15], s[14:15], 0x0
	s_cmp_le_u32 s1, s2
	s_mov_b32 s1, -1
	s_cselect_b32 s11, -1, 0
	s_and_b32 vcc_lo, exec_lo, s11
	s_cbranch_vccnz .LBB0_9
; %bb.5:
	v_add_nc_u32_e32 v5, s7, v3
	s_mov_b32 s1, exec_lo
	v_cmpx_gt_u32_e64 s2, v5
	s_cbranch_execz .LBB0_8
; %bb.6:
	v_mad_u64_u32 v[1:2], null, s16, v4, 0
	s_lshl_b64 s[24:25], s[18:19], 4
	v_lshlrev_b32_e32 v9, 4, v4
	s_add_u32 s21, s22, s24
	s_addc_u32 s24, s23, s25
	v_mad_u64_u32 v[6:7], null, s17, v4, v[2:3]
	v_mov_b32_e32 v2, v6
	v_mul_u32_u24_e32 v6, 0x320, v3
	v_lshlrev_b64 v[7:8], 4, v[1:2]
	v_mul_lo_u32 v1, v3, s20
	v_add3_u32 v6, v6, v9, 0
	v_mov_b32_e32 v2, 0
	v_add_co_u32 v7, vcc_lo, s21, v7
	v_add_co_ci_u32_e32 v8, vcc_lo, s24, v8, vcc_lo
	s_mov_b32 s21, 0
	s_mov_b32 s24, 0
	.p2align	6
.LBB0_7:                                ; =>This Inner Loop Header: Depth=1
	v_lshlrev_b64 v[9:10], 4, v[1:2]
	s_add_i32 s24, s24, 1
	v_add_nc_u32_e32 v1, s20, v1
	v_add_nc_u32_e32 v13, s24, v5
	v_add_co_u32 v9, vcc_lo, v7, v9
	v_add_co_ci_u32_e32 v10, vcc_lo, v8, v10, vcc_lo
	v_cmp_le_u32_e32 vcc_lo, s2, v13
	global_load_dwordx4 v[9:12], v[9:10], off
	s_or_b32 s21, vcc_lo, s21
	s_waitcnt vmcnt(0)
	ds_write_b128 v6, v[9:12]
	v_add_nc_u32_e32 v6, 0x320, v6
	s_andn2_b32 exec_lo, exec_lo, s21
	s_cbranch_execnz .LBB0_7
.LBB0_8:
	s_or_b32 exec_lo, exec_lo, s1
	s_mov_b32 s1, 0
.LBB0_9:
	s_andn2_b32 vcc_lo, exec_lo, s1
	s_cbranch_vccnz .LBB0_11
; %bb.10:
	v_mad_u64_u32 v[1:2], null, s16, v4, 0
	v_mul_lo_u32 v21, s20, v3
	v_mov_b32_e32 v22, 0
	v_mad_u64_u32 v[7:8], null, s17, v4, v[2:3]
	v_lshlrev_b64 v[5:6], 4, v[21:22]
	v_add_nc_u32_e32 v21, s20, v21
	s_lshl_b64 s[16:17], s[18:19], 4
	s_add_u32 s1, s22, s16
	s_addc_u32 s16, s23, s17
	v_mov_b32_e32 v2, v7
	v_lshlrev_b64 v[8:9], 4, v[21:22]
	v_add_nc_u32_e32 v21, s20, v21
	v_lshlrev_b64 v[1:2], 4, v[1:2]
	v_lshlrev_b64 v[10:11], 4, v[21:22]
	v_add_nc_u32_e32 v21, s20, v21
	v_add_co_u32 v31, vcc_lo, s1, v1
	v_lshlrev_b64 v[12:13], 4, v[21:22]
	v_add_nc_u32_e32 v21, s20, v21
	v_add_co_ci_u32_e32 v32, vcc_lo, s16, v2, vcc_lo
	v_add_co_u32 v5, vcc_lo, v31, v5
	v_lshlrev_b64 v[1:2], 4, v[21:22]
	v_add_co_ci_u32_e32 v6, vcc_lo, v32, v6, vcc_lo
	v_add_nc_u32_e32 v21, s20, v21
	v_add_co_u32 v14, vcc_lo, v31, v8
	v_add_co_ci_u32_e32 v15, vcc_lo, v32, v9, vcc_lo
	v_add_co_u32 v16, vcc_lo, v31, v10
	v_lshlrev_b64 v[23:24], 4, v[21:22]
	v_add_nc_u32_e32 v21, s20, v21
	v_add_co_ci_u32_e32 v17, vcc_lo, v32, v11, vcc_lo
	v_add_co_u32 v18, vcc_lo, v31, v12
	v_add_co_ci_u32_e32 v19, vcc_lo, v32, v13, vcc_lo
	v_add_co_u32 v1, vcc_lo, v31, v1
	v_lshlrev_b64 v[25:26], 4, v[21:22]
	v_add_nc_u32_e32 v21, s20, v21
	v_add_co_ci_u32_e32 v2, vcc_lo, v32, v2, vcc_lo
	v_add_co_u32 v27, vcc_lo, v31, v23
	v_add_co_ci_u32_e32 v28, vcc_lo, v32, v24, vcc_lo
	v_lshlrev_b64 v[23:24], 4, v[21:22]
	v_add_nc_u32_e32 v21, s20, v21
	v_add_co_u32 v29, vcc_lo, v31, v25
	v_add_co_ci_u32_e32 v30, vcc_lo, v32, v26, vcc_lo
	v_lshlrev_b64 v[25:26], 4, v[21:22]
	v_add_nc_u32_e32 v21, s20, v21
	v_add_co_u32 v33, vcc_lo, v31, v23
	v_add_co_ci_u32_e32 v34, vcc_lo, v32, v24, vcc_lo
	v_lshlrev_b64 v[21:22], 4, v[21:22]
	v_add_co_u32 v37, vcc_lo, v31, v25
	v_add_co_ci_u32_e32 v38, vcc_lo, v32, v26, vcc_lo
	s_clause 0x3
	global_load_dwordx4 v[5:8], v[5:6], off
	global_load_dwordx4 v[9:12], v[14:15], off
	;; [unrolled: 1-line block ×4, first 2 shown]
	v_add_co_u32 v41, vcc_lo, v31, v21
	v_add_co_ci_u32_e32 v42, vcc_lo, v32, v22, vcc_lo
	s_clause 0x5
	global_load_dwordx4 v[21:24], v[1:2], off
	global_load_dwordx4 v[25:28], v[27:28], off
	;; [unrolled: 1-line block ×6, first 2 shown]
	v_mul_u32_u24_e32 v1, 0x320, v3
	v_lshlrev_b32_e32 v2, 4, v4
	v_add3_u32 v1, 0, v1, v2
	s_waitcnt vmcnt(9)
	ds_write_b128 v1, v[5:8]
	s_waitcnt vmcnt(8)
	ds_write_b128 v1, v[9:12] offset:800
	v_add_nc_u32_e32 v2, 0x800, v1
	v_add_nc_u32_e32 v3, 0x1000, v1
	s_waitcnt vmcnt(7)
	ds_write_b128 v1, v[13:16] offset:1600
	s_waitcnt vmcnt(6)
	ds_write_b128 v1, v[17:20] offset:2400
	v_add_nc_u32_e32 v1, 0x1800, v1
	s_waitcnt vmcnt(5)
	ds_write2_b64 v2, v[21:22], v[23:24] offset0:144 offset1:145
	s_waitcnt vmcnt(4)
	ds_write2_b64 v2, v[25:26], v[27:28] offset0:244 offset1:245
	;; [unrolled: 2-line block ×6, first 2 shown]
.LBB0_11:
	v_mov_b32_e32 v1, 0x3334
	v_mul_hi_u32 v3, 0x33333334, v0
	s_waitcnt lgkmcnt(0)
	s_barrier
	buffer_gl0_inv
	v_mul_u32_u24_sdwa v1, v0, v1 dst_sel:DWORD dst_unused:UNUSED_PAD src0_sel:WORD_0 src1_sel:DWORD
	s_mov_b32 s16, 0x134454ff
	s_mov_b32 s17, 0xbfee6f0e
	;; [unrolled: 1-line block ×3, first 2 shown]
	v_mul_u32_u24_e32 v3, 5, v3
	v_add_nc_u32_sdwa v1, s7, v1 dst_sel:DWORD dst_unused:UNUSED_PAD src0_sel:DWORD src1_sel:WORD_1
	s_mov_b32 s18, s16
	s_mov_b32 s20, 0x4755a5e
	;; [unrolled: 1-line block ×4, first 2 shown]
	v_mul_hi_u32 v2, 0xcccccccd, v1
	s_mov_b32 s22, s20
	s_mov_b32 s24, 0x372fe950
	;; [unrolled: 1-line block ×7, first 2 shown]
	v_lshrrev_b32_e32 v2, 3, v2
	s_mov_b32 s31, 0xbfe9e377
	s_mov_b32 s30, s26
	s_mov_b32 s1, 0
	v_mul_lo_u32 v2, v2, 10
	v_sub_nc_u32_e32 v1, v1, v2
	v_sub_nc_u32_e32 v2, v0, v3
	v_mul_u32_u24_e32 v1, 50, v1
	v_lshlrev_b32_e32 v3, 4, v2
	v_lshlrev_b32_e32 v4, 4, v1
	v_add3_u32 v1, 0, v3, v4
	v_add3_u32 v3, 0, v4, v3
	ds_read_b128 v[4:7], v1 offset:400
	ds_read_b128 v[8:11], v1 offset:560
	ds_read_b128 v[12:15], v1 offset:240
	ds_read_b128 v[16:19], v1 offset:720
	ds_read_b128 v[20:23], v1 offset:160
	ds_read_b128 v[24:27], v3
	ds_read_b128 v[28:31], v1 offset:320
	ds_read_b128 v[32:35], v1 offset:480
	;; [unrolled: 1-line block ×4, first 2 shown]
	s_waitcnt lgkmcnt(0)
	s_barrier
	buffer_gl0_inv
	v_add_f64 v[44:45], v[6:7], v[10:11]
	v_add_f64 v[50:51], v[4:5], v[8:9]
	;; [unrolled: 1-line block ×5, first 2 shown]
	v_add_f64 v[72:73], v[12:13], -v[16:17]
	v_add_f64 v[54:55], v[28:29], v[32:33]
	v_add_f64 v[56:57], v[20:21], v[36:37]
	;; [unrolled: 1-line block ×4, first 2 shown]
	v_add_f64 v[76:77], v[4:5], -v[8:9]
	v_add_f64 v[84:85], v[14:15], -v[18:19]
	v_add_f64 v[48:49], v[24:25], v[20:21]
	v_add_f64 v[62:63], v[22:23], -v[38:39]
	v_add_f64 v[68:69], v[22:23], -v[30:31]
	;; [unrolled: 1-line block ×9, first 2 shown]
	v_fma_f64 v[44:45], v[44:45], -0.5, v[42:43]
	v_fma_f64 v[50:51], v[50:51], -0.5, v[40:41]
	;; [unrolled: 1-line block ×3, first 2 shown]
	v_add_f64 v[90:91], v[10:11], -v[18:19]
	v_add_f64 v[30:31], v[52:53], v[30:31]
	v_add_f64 v[52:53], v[40:41], v[12:13]
	v_fma_f64 v[54:55], v[54:55], -0.5, v[24:25]
	v_fma_f64 v[24:25], v[56:57], -0.5, v[24:25]
	;; [unrolled: 1-line block ×4, first 2 shown]
	v_add_f64 v[14:15], v[42:43], v[14:15]
	v_fma_f64 v[40:41], v[70:71], -0.5, v[40:41]
	v_add_f64 v[58:59], v[6:7], -v[10:11]
	v_add_f64 v[64:65], v[20:21], -v[28:29]
	;; [unrolled: 1-line block ×4, first 2 shown]
	v_add_f64 v[48:49], v[48:49], v[28:29]
	v_add_f64 v[28:29], v[28:29], -v[32:33]
	v_add_f64 v[12:13], v[4:5], -v[12:13]
	v_add_f64 v[78:79], v[78:79], v[86:87]
	v_add_f64 v[86:87], v[36:37], -v[32:33]
	v_fma_f64 v[42:43], v[72:73], s[18:19], v[44:45]
	v_fma_f64 v[44:45], v[72:73], s[16:17], v[44:45]
	;; [unrolled: 1-line block ×5, first 2 shown]
	v_add_f64 v[80:81], v[80:81], v[88:89]
	v_add_f64 v[88:89], v[32:33], -v[36:37]
	v_add_f64 v[82:83], v[82:83], v[90:91]
	v_add_f64 v[90:91], v[8:9], -v[16:17]
	v_fma_f64 v[50:51], v[84:85], s[18:19], v[50:51]
	v_add_f64 v[4:5], v[52:53], v[4:5]
	v_add_f64 v[6:7], v[14:15], v[6:7]
	v_add_f64 v[14:15], v[34:35], -v[38:39]
	v_add_f64 v[30:31], v[30:31], v[34:35]
	v_add_f64 v[64:65], v[64:65], v[86:87]
	v_fma_f64 v[42:43], v[76:77], s[22:23], v[42:43]
	v_fma_f64 v[44:45], v[76:77], s[20:21], v[44:45]
	;; [unrolled: 1-line block ×7, first 2 shown]
	v_add_f64 v[72:73], v[38:39], -v[34:35]
	v_add_f64 v[66:67], v[66:67], v[88:89]
	v_add_f64 v[12:13], v[12:13], v[90:91]
	v_fma_f64 v[70:71], v[62:63], s[16:17], v[54:55]
	v_fma_f64 v[86:87], v[74:75], s[18:19], v[24:25]
	;; [unrolled: 1-line block ×9, first 2 shown]
	v_add_f64 v[14:15], v[22:23], v[14:15]
	v_add_f64 v[22:23], v[48:49], v[32:33]
	;; [unrolled: 1-line block ×3, first 2 shown]
	v_fma_f64 v[42:43], v[80:81], s[24:25], v[42:43]
	v_fma_f64 v[44:45], v[80:81], s[24:25], v[44:45]
	;; [unrolled: 1-line block ×7, first 2 shown]
	v_add_f64 v[6:7], v[6:7], v[10:11]
	v_add_f64 v[68:69], v[68:69], v[72:73]
	;; [unrolled: 1-line block ×3, first 2 shown]
	v_fma_f64 v[8:9], v[74:75], s[20:21], v[70:71]
	v_fma_f64 v[32:33], v[62:63], s[20:21], v[86:87]
	;; [unrolled: 1-line block ×9, first 2 shown]
	v_add_f64 v[22:23], v[22:23], v[36:37]
	v_add_f64 v[16:17], v[4:5], v[16:17]
	v_mad_u32_u24 v4, 0x90, v2, v1
	v_fma_f64 v[50:51], v[12:13], s[24:25], v[58:59]
	v_fma_f64 v[12:13], v[12:13], s[24:25], v[40:41]
	v_mul_f64 v[40:41], v[42:43], s[20:21]
	v_mul_f64 v[56:57], v[46:47], s[16:17]
	;; [unrolled: 1-line block ×8, first 2 shown]
	v_add_f64 v[18:19], v[6:7], v[18:19]
	v_fma_f64 v[36:37], v[64:65], s[24:25], v[8:9]
	v_fma_f64 v[32:33], v[66:67], s[24:25], v[32:33]
	;; [unrolled: 1-line block ×8, first 2 shown]
	v_add_f64 v[5:6], v[22:23], v[16:17]
	v_add_f64 v[9:10], v[22:23], -v[16:17]
	v_fma_f64 v[34:35], v[52:53], s[26:27], v[40:41]
	v_fma_f64 v[52:53], v[12:13], s[28:29], v[56:57]
	;; [unrolled: 1-line block ×8, first 2 shown]
	v_add_f64 v[7:8], v[30:31], v[18:19]
	v_add_f64 v[11:12], v[30:31], -v[18:19]
	v_lshlrev_b32_e32 v45, 6, v2
	v_mad_i32_i24 v2, 0xffffff70, v2, v4
	v_add_f64 v[13:14], v[36:37], v[34:35]
	v_add_f64 v[21:22], v[38:39], v[52:53]
	;; [unrolled: 1-line block ×8, first 2 shown]
	v_add_f64 v[29:30], v[36:37], -v[34:35]
	v_add_f64 v[33:34], v[32:33], -v[40:41]
	;; [unrolled: 1-line block ×8, first 2 shown]
	ds_write_b128 v4, v[5:8]
	ds_write_b128 v4, v[9:12] offset:80
	ds_write_b128 v4, v[13:16] offset:16
	;; [unrolled: 1-line block ×9, first 2 shown]
	s_waitcnt lgkmcnt(0)
	s_barrier
	buffer_gl0_inv
	s_clause 0x1
	global_load_dwordx4 v[5:8], v45, s[12:13]
	global_load_dwordx4 v[9:12], v45, s[12:13] offset:16
	v_add_nc_u32_e32 v33, 0x140, v45
	s_clause 0x5
	global_load_dwordx4 v[13:16], v45, s[12:13] offset:32
	global_load_dwordx4 v[17:20], v45, s[12:13] offset:48
	global_load_dwordx4 v[21:24], v33, s[12:13]
	global_load_dwordx4 v[25:28], v33, s[12:13] offset:16
	global_load_dwordx4 v[29:32], v33, s[12:13] offset:32
	;; [unrolled: 1-line block ×3, first 2 shown]
	ds_read_b128 v[37:40], v1 offset:160
	ds_read_b128 v[41:44], v1 offset:320
	;; [unrolled: 1-line block ×5, first 2 shown]
	ds_read_b128 v[57:60], v3
	ds_read_b128 v[61:64], v1 offset:400
	ds_read_b128 v[65:68], v1 offset:560
	;; [unrolled: 1-line block ×3, first 2 shown]
	v_mul_hi_u32 v3, 0x1999999a, v0
	s_waitcnt vmcnt(5) lgkmcnt(6)
	v_mul_f64 v[77:78], v[47:48], v[15:16]
	v_mul_f64 v[73:74], v[39:40], v[7:8]
	;; [unrolled: 1-line block ×6, first 2 shown]
	s_waitcnt vmcnt(4) lgkmcnt(5)
	v_mul_f64 v[79:80], v[51:52], v[19:20]
	v_mul_f64 v[19:20], v[49:50], v[19:20]
	s_waitcnt vmcnt(3) lgkmcnt(4)
	v_mul_f64 v[81:82], v[55:56], v[23:24]
	v_mul_f64 v[23:24], v[53:54], v[23:24]
	v_fma_f64 v[37:38], v[37:38], v[5:6], v[73:74]
	v_fma_f64 v[39:40], v[39:40], v[5:6], -v[7:8]
	s_waitcnt vmcnt(2) lgkmcnt(2)
	v_mul_f64 v[5:6], v[63:64], v[27:28]
	v_mul_f64 v[7:8], v[61:62], v[27:28]
	s_waitcnt vmcnt(1) lgkmcnt(1)
	v_mul_f64 v[27:28], v[67:68], v[31:32]
	s_waitcnt vmcnt(0) lgkmcnt(0)
	v_mul_f64 v[73:74], v[71:72], v[35:36]
	v_fma_f64 v[41:42], v[41:42], v[9:10], v[75:76]
	v_fma_f64 v[9:10], v[43:44], v[9:10], -v[11:12]
	v_mul_f64 v[11:12], v[65:66], v[31:32]
	v_mul_f64 v[31:32], v[69:70], v[35:36]
	v_fma_f64 v[35:36], v[45:46], v[13:14], v[77:78]
	v_fma_f64 v[13:14], v[47:48], v[13:14], -v[15:16]
	v_fma_f64 v[15:16], v[49:50], v[17:18], v[79:80]
	v_fma_f64 v[17:18], v[51:52], v[17:18], -v[19:20]
	;; [unrolled: 2-line block ×4, first 2 shown]
	v_fma_f64 v[27:28], v[65:66], v[29:30], v[27:28]
	v_fma_f64 v[43:44], v[69:70], v[33:34], v[73:74]
	v_add_f64 v[61:62], v[37:38], -v[41:42]
	v_add_f64 v[73:74], v[41:42], -v[37:38]
	v_fma_f64 v[11:12], v[67:68], v[29:30], -v[11:12]
	v_fma_f64 v[29:30], v[71:72], v[33:34], -v[31:32]
	v_add_f64 v[31:32], v[41:42], v[35:36]
	v_add_f64 v[45:46], v[9:10], v[13:14]
	;; [unrolled: 1-line block ×4, first 2 shown]
	v_add_f64 v[63:64], v[15:16], -v[35:36]
	v_add_f64 v[75:76], v[35:36], -v[15:16]
	ds_read_b128 v[4:7], v2 offset:80
	v_add_f64 v[77:78], v[39:40], -v[9:10]
	v_add_f64 v[79:80], v[17:18], -v[13:14]
	;; [unrolled: 1-line block ×4, first 2 shown]
	v_add_f64 v[65:66], v[57:58], v[37:38]
	v_add_f64 v[67:68], v[59:60], v[39:40]
	v_add_f64 v[39:40], v[39:40], -v[17:18]
	v_add_f64 v[37:38], v[37:38], -v[15:16]
	;; [unrolled: 1-line block ×3, first 2 shown]
	v_add_f64 v[49:50], v[23:24], v[27:28]
	v_add_f64 v[51:52], v[19:20], v[43:44]
	v_add_f64 v[87:88], v[43:44], -v[27:28]
	v_add_f64 v[89:90], v[23:24], -v[19:20]
	v_add_f64 v[53:54], v[25:26], v[11:12]
	v_add_f64 v[55:56], v[21:22], v[29:30]
	v_fma_f64 v[31:32], v[31:32], -0.5, v[57:58]
	v_fma_f64 v[45:46], v[45:46], -0.5, v[59:60]
	;; [unrolled: 1-line block ×4, first 2 shown]
	s_waitcnt lgkmcnt(0)
	v_add_f64 v[69:70], v[4:5], v[19:20]
	v_add_f64 v[71:72], v[6:7], v[21:22]
	v_add_f64 v[57:58], v[21:22], -v[25:26]
	v_add_f64 v[59:60], v[29:30], -v[11:12]
	v_add_f64 v[61:62], v[61:62], v[63:64]
	v_add_f64 v[63:64], v[9:10], -v[13:14]
	v_add_f64 v[73:74], v[73:74], v[75:76]
	v_add_f64 v[75:76], v[41:42], -v[35:36]
	v_add_f64 v[91:92], v[27:28], -v[43:44]
	;; [unrolled: 1-line block ×3, first 2 shown]
	v_add_f64 v[77:78], v[77:78], v[79:80]
	v_add_f64 v[79:80], v[25:26], -v[11:12]
	v_fma_f64 v[49:50], v[49:50], -0.5, v[4:5]
	v_fma_f64 v[4:5], v[51:52], -0.5, v[4:5]
	v_add_f64 v[81:82], v[81:82], v[83:84]
	v_add_f64 v[83:84], v[23:24], -v[27:28]
	v_fma_f64 v[51:52], v[53:54], -0.5, v[6:7]
	v_fma_f64 v[6:7], v[55:56], -0.5, v[6:7]
	v_add_f64 v[53:54], v[25:26], -v[21:22]
	v_add_f64 v[55:56], v[11:12], -v[29:30]
	;; [unrolled: 1-line block ×3, first 2 shown]
	v_mul_u32_u24_e32 v8, 10, v3
	v_add_f64 v[41:42], v[65:66], v[41:42]
	v_add_f64 v[25:26], v[71:72], v[25:26]
	;; [unrolled: 1-line block ×4, first 2 shown]
	v_sub_nc_u32_e32 v0, v0, v8
	v_add_f64 v[8:9], v[67:68], v[9:10]
	v_fma_f64 v[59:60], v[37:38], s[18:19], v[45:46]
	v_fma_f64 v[65:66], v[63:64], s[18:19], v[33:34]
	;; [unrolled: 1-line block ×6, first 2 shown]
	v_add_f64 v[85:86], v[85:86], v[87:88]
	v_add_f64 v[87:88], v[89:90], v[91:92]
	v_fma_f64 v[71:72], v[79:80], s[18:19], v[4:5]
	v_fma_f64 v[4:5], v[79:80], s[16:17], v[4:5]
	;; [unrolled: 1-line block ×5, first 2 shown]
	v_add_f64 v[53:54], v[53:54], v[55:56]
	v_fma_f64 v[55:56], v[39:40], s[16:17], v[31:32]
	v_fma_f64 v[31:32], v[39:40], s[18:19], v[31:32]
	;; [unrolled: 1-line block ×5, first 2 shown]
	v_add_f64 v[35:36], v[41:42], v[35:36]
	v_add_f64 v[10:11], v[25:26], v[11:12]
	;; [unrolled: 1-line block ×4, first 2 shown]
	v_fma_f64 v[25:26], v[75:76], s[22:23], v[59:60]
	v_fma_f64 v[41:42], v[39:40], s[20:21], v[65:66]
	;; [unrolled: 1-line block ×5, first 2 shown]
	v_add_nc_u32_e32 v67, s7, v0
	s_barrier
	buffer_gl0_inv
	v_fma_f64 v[59:60], v[83:84], s[22:23], v[89:90]
	v_cmp_gt_u32_e32 vcc_lo, s2, v67
	v_fma_f64 v[65:66], v[19:20], s[20:21], v[6:7]
	v_fma_f64 v[23:24], v[63:64], s[20:21], v[55:56]
	;; [unrolled: 1-line block ×10, first 2 shown]
	v_add_f64 v[4:5], v[35:36], v[15:16]
	v_add_f64 v[6:7], v[8:9], v[17:18]
	;; [unrolled: 1-line block ×3, first 2 shown]
	v_fma_f64 v[14:15], v[77:78], s[24:25], v[25:26]
	v_fma_f64 v[20:21], v[73:74], s[24:25], v[41:42]
	v_add_f64 v[10:11], v[10:11], v[29:30]
	s_or_b32 s2, s11, vcc_lo
	v_fma_f64 v[12:13], v[61:62], s[24:25], v[23:24]
	v_fma_f64 v[22:23], v[81:82], s[24:25], v[39:40]
	v_fma_f64 v[16:17], v[61:62], s[24:25], v[27:28]
	v_fma_f64 v[24:25], v[73:74], s[24:25], v[33:34]
	v_fma_f64 v[26:27], v[81:82], s[24:25], v[37:38]
	v_fma_f64 v[18:19], v[77:78], s[24:25], v[31:32]
	v_fma_f64 v[28:29], v[85:86], s[24:25], v[45:46]
	v_fma_f64 v[36:37], v[57:58], s[24:25], v[59:60]
	v_fma_f64 v[32:33], v[87:88], s[24:25], v[49:50]
	v_fma_f64 v[38:39], v[53:54], s[24:25], v[63:64]
	v_fma_f64 v[34:35], v[87:88], s[24:25], v[55:56]
	v_fma_f64 v[40:41], v[53:54], s[24:25], v[65:66]
	v_fma_f64 v[30:31], v[85:86], s[24:25], v[47:48]
	v_fma_f64 v[42:43], v[57:58], s[24:25], v[51:52]
	ds_write_b128 v2, v[4:7]
	ds_write_b128 v1, v[12:15] offset:160
	ds_write_b128 v1, v[20:23] offset:320
	;; [unrolled: 1-line block ×5, first 2 shown]
	ds_write2_b64 v2, v[28:29], v[36:37] offset0:30 offset1:31
	ds_write2_b64 v2, v[32:33], v[38:39] offset0:50 offset1:51
	;; [unrolled: 1-line block ×4, first 2 shown]
	s_waitcnt lgkmcnt(0)
	s_barrier
	buffer_gl0_inv
	s_and_saveexec_b32 s11, s2
	s_cbranch_execz .LBB0_13
; %bb.12:
	s_load_dwordx2 s[4:5], s[4:5], 0x60
	v_mad_u64_u32 v[1:2], null, s8, v0, 0
	s_mul_i32 s11, s9, s7
	s_mul_hi_u32 s12, s8, s7
	v_mul_lo_u32 v20, v3, s10
	s_mul_i32 s0, s6, s0
	s_mul_i32 s2, s8, s7
	;; [unrolled: 1-line block ×3, first 2 shown]
	v_mad_u64_u32 v[4:5], null, s9, v0, v[2:3]
	v_mul_i32_i24_e32 v0, 0x320, v0
	v_lshlrev_b32_e32 v3, 4, v3
	s_mul_hi_u32 s8, s14, s3
	s_mul_i32 s6, s14, s3
	s_add_i32 s3, s12, s11
	s_add_i32 s7, s8, s7
	s_lshl_b64 s[2:3], s[2:3], 4
	v_mov_b32_e32 v2, v4
	v_add3_u32 v28, 0, v0, v3
	s_waitcnt lgkmcnt(0)
	s_add_u32 s2, s4, s2
	s_addc_u32 s3, s5, s3
	s_lshl_b64 s[0:1], s[0:1], 4
	v_mov_b32_e32 v21, 0
	s_add_u32 s2, s2, s0
	s_addc_u32 s3, s3, s1
	s_lshl_b64 s[0:1], s[6:7], 4
	v_lshlrev_b64 v[8:9], 4, v[1:2]
	ds_read_b128 v[0:3], v28
	ds_read_b128 v[4:7], v28 offset:80
	s_add_u32 s0, s2, s0
	s_mul_i32 s2, s10, 5
	v_lshlrev_b64 v[10:11], 4, v[20:21]
	v_add_nc_u32_e32 v20, s2, v20
	s_addc_u32 s1, s3, s1
	v_add_co_u32 v30, vcc_lo, s0, v8
	v_add_co_ci_u32_e32 v31, vcc_lo, s1, v9, vcc_lo
	v_lshlrev_b64 v[8:9], 4, v[20:21]
	v_add_co_u32 v10, vcc_lo, v30, v10
	v_add_co_ci_u32_e32 v11, vcc_lo, v31, v11, vcc_lo
	v_add_nc_u32_e32 v20, s2, v20
	v_add_co_u32 v8, vcc_lo, v30, v8
	v_add_co_ci_u32_e32 v9, vcc_lo, v31, v9, vcc_lo
	s_waitcnt lgkmcnt(1)
	global_store_dwordx4 v[10:11], v[0:3], off
	s_waitcnt lgkmcnt(0)
	global_store_dwordx4 v[8:9], v[4:7], off
	v_lshlrev_b64 v[12:13], 4, v[20:21]
	v_add_nc_u32_e32 v20, s2, v20
	ds_read_b128 v[0:3], v28 offset:160
	ds_read_b128 v[4:7], v28 offset:240
	;; [unrolled: 1-line block ×3, first 2 shown]
	v_lshlrev_b64 v[14:15], 4, v[20:21]
	v_add_nc_u32_e32 v20, s2, v20
	v_add_co_u32 v12, vcc_lo, v30, v12
	v_add_co_ci_u32_e32 v13, vcc_lo, v31, v13, vcc_lo
	v_lshlrev_b64 v[16:17], 4, v[20:21]
	v_add_nc_u32_e32 v20, s2, v20
	v_add_co_u32 v14, vcc_lo, v30, v14
	v_add_co_ci_u32_e32 v15, vcc_lo, v31, v15, vcc_lo
	v_lshlrev_b64 v[18:19], 4, v[20:21]
	v_add_nc_u32_e32 v20, s2, v20
	v_add_co_u32 v16, vcc_lo, v30, v16
	s_waitcnt lgkmcnt(2)
	global_store_dwordx4 v[12:13], v[0:3], off
	s_waitcnt lgkmcnt(1)
	global_store_dwordx4 v[14:15], v[4:7], off
	v_add_co_ci_u32_e32 v17, vcc_lo, v31, v17, vcc_lo
	v_lshlrev_b64 v[4:5], 4, v[20:21]
	v_add_co_u32 v22, vcc_lo, v30, v18
	v_add_nc_u32_e32 v20, s2, v20
	v_add_co_ci_u32_e32 v23, vcc_lo, v31, v19, vcc_lo
	v_add_co_u32 v24, vcc_lo, v30, v4
	s_waitcnt lgkmcnt(0)
	global_store_dwordx4 v[16:17], v[8:11], off
	ds_read_b128 v[0:3], v28 offset:400
	v_add_co_ci_u32_e32 v25, vcc_lo, v31, v5, vcc_lo
	ds_read_b128 v[4:7], v28 offset:480
	ds_read_b128 v[8:11], v28 offset:560
	;; [unrolled: 1-line block ×4, first 2 shown]
	v_lshlrev_b64 v[26:27], 4, v[20:21]
	v_add_nc_u32_e32 v20, s2, v20
	v_lshlrev_b64 v[28:29], 4, v[20:21]
	v_add_nc_u32_e32 v20, s2, v20
	v_add_co_u32 v26, vcc_lo, v30, v26
	v_add_co_ci_u32_e32 v27, vcc_lo, v31, v27, vcc_lo
	v_lshlrev_b64 v[20:21], 4, v[20:21]
	v_add_co_u32 v28, vcc_lo, v30, v28
	v_add_co_ci_u32_e32 v29, vcc_lo, v31, v29, vcc_lo
	v_add_co_u32 v20, vcc_lo, v30, v20
	v_add_co_ci_u32_e32 v21, vcc_lo, v31, v21, vcc_lo
	s_waitcnt lgkmcnt(4)
	global_store_dwordx4 v[22:23], v[0:3], off
	s_waitcnt lgkmcnt(3)
	global_store_dwordx4 v[24:25], v[4:7], off
	;; [unrolled: 2-line block ×5, first 2 shown]
.LBB0_13:
	s_endpgm
	.section	.rodata,"a",@progbits
	.p2align	6, 0x0
	.amdhsa_kernel fft_rtc_back_len50_factors_10_5_wgs_50_tpt_5_dp_op_CI_CI_sbrc_xy_z_unaligned
		.amdhsa_group_segment_fixed_size 0
		.amdhsa_private_segment_fixed_size 0
		.amdhsa_kernarg_size 104
		.amdhsa_user_sgpr_count 6
		.amdhsa_user_sgpr_private_segment_buffer 1
		.amdhsa_user_sgpr_dispatch_ptr 0
		.amdhsa_user_sgpr_queue_ptr 0
		.amdhsa_user_sgpr_kernarg_segment_ptr 1
		.amdhsa_user_sgpr_dispatch_id 0
		.amdhsa_user_sgpr_flat_scratch_init 0
		.amdhsa_user_sgpr_private_segment_size 0
		.amdhsa_wavefront_size32 1
		.amdhsa_uses_dynamic_stack 0
		.amdhsa_system_sgpr_private_segment_wavefront_offset 0
		.amdhsa_system_sgpr_workgroup_id_x 1
		.amdhsa_system_sgpr_workgroup_id_y 0
		.amdhsa_system_sgpr_workgroup_id_z 0
		.amdhsa_system_sgpr_workgroup_info 0
		.amdhsa_system_vgpr_workitem_id 0
		.amdhsa_next_free_vgpr 93
		.amdhsa_next_free_sgpr 32
		.amdhsa_reserve_vcc 1
		.amdhsa_reserve_flat_scratch 0
		.amdhsa_float_round_mode_32 0
		.amdhsa_float_round_mode_16_64 0
		.amdhsa_float_denorm_mode_32 3
		.amdhsa_float_denorm_mode_16_64 3
		.amdhsa_dx10_clamp 1
		.amdhsa_ieee_mode 1
		.amdhsa_fp16_overflow 0
		.amdhsa_workgroup_processor_mode 1
		.amdhsa_memory_ordered 1
		.amdhsa_forward_progress 0
		.amdhsa_shared_vgpr_count 0
		.amdhsa_exception_fp_ieee_invalid_op 0
		.amdhsa_exception_fp_denorm_src 0
		.amdhsa_exception_fp_ieee_div_zero 0
		.amdhsa_exception_fp_ieee_overflow 0
		.amdhsa_exception_fp_ieee_underflow 0
		.amdhsa_exception_fp_ieee_inexact 0
		.amdhsa_exception_int_div_zero 0
	.end_amdhsa_kernel
	.text
.Lfunc_end0:
	.size	fft_rtc_back_len50_factors_10_5_wgs_50_tpt_5_dp_op_CI_CI_sbrc_xy_z_unaligned, .Lfunc_end0-fft_rtc_back_len50_factors_10_5_wgs_50_tpt_5_dp_op_CI_CI_sbrc_xy_z_unaligned
                                        ; -- End function
	.section	.AMDGPU.csdata,"",@progbits
; Kernel info:
; codeLenInByte = 5032
; NumSgprs: 34
; NumVgprs: 93
; ScratchSize: 0
; MemoryBound: 0
; FloatMode: 240
; IeeeMode: 1
; LDSByteSize: 0 bytes/workgroup (compile time only)
; SGPRBlocks: 4
; VGPRBlocks: 11
; NumSGPRsForWavesPerEU: 34
; NumVGPRsForWavesPerEU: 93
; Occupancy: 10
; WaveLimiterHint : 1
; COMPUTE_PGM_RSRC2:SCRATCH_EN: 0
; COMPUTE_PGM_RSRC2:USER_SGPR: 6
; COMPUTE_PGM_RSRC2:TRAP_HANDLER: 0
; COMPUTE_PGM_RSRC2:TGID_X_EN: 1
; COMPUTE_PGM_RSRC2:TGID_Y_EN: 0
; COMPUTE_PGM_RSRC2:TGID_Z_EN: 0
; COMPUTE_PGM_RSRC2:TIDIG_COMP_CNT: 0
	.text
	.p2alignl 6, 3214868480
	.fill 48, 4, 3214868480
	.type	__hip_cuid_dad8c75752fc0c68,@object ; @__hip_cuid_dad8c75752fc0c68
	.section	.bss,"aw",@nobits
	.globl	__hip_cuid_dad8c75752fc0c68
__hip_cuid_dad8c75752fc0c68:
	.byte	0                               ; 0x0
	.size	__hip_cuid_dad8c75752fc0c68, 1

	.ident	"AMD clang version 19.0.0git (https://github.com/RadeonOpenCompute/llvm-project roc-6.4.0 25133 c7fe45cf4b819c5991fe208aaa96edf142730f1d)"
	.section	".note.GNU-stack","",@progbits
	.addrsig
	.addrsig_sym __hip_cuid_dad8c75752fc0c68
	.amdgpu_metadata
---
amdhsa.kernels:
  - .args:
      - .actual_access:  read_only
        .address_space:  global
        .offset:         0
        .size:           8
        .value_kind:     global_buffer
      - .offset:         8
        .size:           8
        .value_kind:     by_value
      - .actual_access:  read_only
        .address_space:  global
        .offset:         16
        .size:           8
        .value_kind:     global_buffer
      - .actual_access:  read_only
        .address_space:  global
        .offset:         24
        .size:           8
        .value_kind:     global_buffer
      - .actual_access:  read_only
        .address_space:  global
        .offset:         32
        .size:           8
        .value_kind:     global_buffer
      - .offset:         40
        .size:           8
        .value_kind:     by_value
      - .actual_access:  read_only
        .address_space:  global
        .offset:         48
        .size:           8
        .value_kind:     global_buffer
      - .actual_access:  read_only
        .address_space:  global
        .offset:         56
        .size:           8
        .value_kind:     global_buffer
      - .offset:         64
        .size:           4
        .value_kind:     by_value
      - .actual_access:  read_only
        .address_space:  global
        .offset:         72
        .size:           8
        .value_kind:     global_buffer
      - .actual_access:  read_only
        .address_space:  global
        .offset:         80
        .size:           8
        .value_kind:     global_buffer
      - .actual_access:  read_only
        .address_space:  global
        .offset:         88
        .size:           8
        .value_kind:     global_buffer
      - .actual_access:  write_only
        .address_space:  global
        .offset:         96
        .size:           8
        .value_kind:     global_buffer
    .group_segment_fixed_size: 0
    .kernarg_segment_align: 8
    .kernarg_segment_size: 104
    .language:       OpenCL C
    .language_version:
      - 2
      - 0
    .max_flat_workgroup_size: 50
    .name:           fft_rtc_back_len50_factors_10_5_wgs_50_tpt_5_dp_op_CI_CI_sbrc_xy_z_unaligned
    .private_segment_fixed_size: 0
    .sgpr_count:     34
    .sgpr_spill_count: 0
    .symbol:         fft_rtc_back_len50_factors_10_5_wgs_50_tpt_5_dp_op_CI_CI_sbrc_xy_z_unaligned.kd
    .uniform_work_group_size: 1
    .uses_dynamic_stack: false
    .vgpr_count:     93
    .vgpr_spill_count: 0
    .wavefront_size: 32
    .workgroup_processor_mode: 1
amdhsa.target:   amdgcn-amd-amdhsa--gfx1030
amdhsa.version:
  - 1
  - 2
...

	.end_amdgpu_metadata
